;; amdgpu-corpus repo=ROCm/rocFFT kind=compiled arch=gfx906 opt=O3
	.text
	.amdgcn_target "amdgcn-amd-amdhsa--gfx906"
	.amdhsa_code_object_version 6
	.protected	fft_rtc_back_len1750_factors_2_5_5_7_5_wgs_175_tpt_175_halfLds_sp_op_CI_CI_sbrr_dirReg ; -- Begin function fft_rtc_back_len1750_factors_2_5_5_7_5_wgs_175_tpt_175_halfLds_sp_op_CI_CI_sbrr_dirReg
	.globl	fft_rtc_back_len1750_factors_2_5_5_7_5_wgs_175_tpt_175_halfLds_sp_op_CI_CI_sbrr_dirReg
	.p2align	8
	.type	fft_rtc_back_len1750_factors_2_5_5_7_5_wgs_175_tpt_175_halfLds_sp_op_CI_CI_sbrr_dirReg,@function
fft_rtc_back_len1750_factors_2_5_5_7_5_wgs_175_tpt_175_halfLds_sp_op_CI_CI_sbrr_dirReg: ; @fft_rtc_back_len1750_factors_2_5_5_7_5_wgs_175_tpt_175_halfLds_sp_op_CI_CI_sbrr_dirReg
; %bb.0:
	s_load_dwordx4 s[16:19], s[4:5], 0x18
	s_load_dwordx4 s[12:15], s[4:5], 0x0
	;; [unrolled: 1-line block ×3, first 2 shown]
	v_mul_u32_u24_e32 v1, 0x177, v0
	v_mov_b32_e32 v7, 0
	s_waitcnt lgkmcnt(0)
	s_load_dwordx2 s[20:21], s[16:17], 0x0
	s_load_dwordx2 s[2:3], s[18:19], 0x0
	v_cmp_lt_u64_e64 s[0:1], s[14:15], 2
	v_mov_b32_e32 v5, 0
	v_add_u32_sdwa v9, s6, v1 dst_sel:DWORD dst_unused:UNUSED_PAD src0_sel:DWORD src1_sel:WORD_1
	v_mov_b32_e32 v10, v7
	s_and_b64 vcc, exec, s[0:1]
	v_mov_b32_e32 v6, 0
	s_cbranch_vccnz .LBB0_8
; %bb.1:
	s_load_dwordx2 s[0:1], s[4:5], 0x10
	s_add_u32 s6, s18, 8
	s_addc_u32 s7, s19, 0
	s_add_u32 s22, s16, 8
	s_addc_u32 s23, s17, 0
	v_mov_b32_e32 v5, 0
	s_waitcnt lgkmcnt(0)
	s_add_u32 s24, s0, 8
	v_mov_b32_e32 v6, 0
	v_mov_b32_e32 v1, v5
	s_addc_u32 s25, s1, 0
	s_mov_b64 s[26:27], 1
	v_mov_b32_e32 v2, v6
.LBB0_2:                                ; =>This Inner Loop Header: Depth=1
	s_load_dwordx2 s[28:29], s[24:25], 0x0
                                        ; implicit-def: $vgpr3_vgpr4
	s_waitcnt lgkmcnt(0)
	v_or_b32_e32 v8, s29, v10
	v_cmp_ne_u64_e32 vcc, 0, v[7:8]
	s_and_saveexec_b64 s[0:1], vcc
	s_xor_b64 s[30:31], exec, s[0:1]
	s_cbranch_execz .LBB0_4
; %bb.3:                                ;   in Loop: Header=BB0_2 Depth=1
	v_cvt_f32_u32_e32 v3, s28
	v_cvt_f32_u32_e32 v4, s29
	s_sub_u32 s0, 0, s28
	s_subb_u32 s1, 0, s29
	v_mac_f32_e32 v3, 0x4f800000, v4
	v_rcp_f32_e32 v3, v3
	v_mul_f32_e32 v3, 0x5f7ffffc, v3
	v_mul_f32_e32 v4, 0x2f800000, v3
	v_trunc_f32_e32 v4, v4
	v_mac_f32_e32 v3, 0xcf800000, v4
	v_cvt_u32_f32_e32 v4, v4
	v_cvt_u32_f32_e32 v3, v3
	v_mul_lo_u32 v8, s0, v4
	v_mul_hi_u32 v11, s0, v3
	v_mul_lo_u32 v13, s1, v3
	v_mul_lo_u32 v12, s0, v3
	v_add_u32_e32 v8, v11, v8
	v_add_u32_e32 v8, v8, v13
	v_mul_hi_u32 v11, v3, v12
	v_mul_lo_u32 v13, v3, v8
	v_mul_hi_u32 v15, v3, v8
	v_mul_hi_u32 v14, v4, v12
	v_mul_lo_u32 v12, v4, v12
	v_mul_hi_u32 v16, v4, v8
	v_add_co_u32_e32 v11, vcc, v11, v13
	v_addc_co_u32_e32 v13, vcc, 0, v15, vcc
	v_mul_lo_u32 v8, v4, v8
	v_add_co_u32_e32 v11, vcc, v11, v12
	v_addc_co_u32_e32 v11, vcc, v13, v14, vcc
	v_addc_co_u32_e32 v12, vcc, 0, v16, vcc
	v_add_co_u32_e32 v8, vcc, v11, v8
	v_addc_co_u32_e32 v11, vcc, 0, v12, vcc
	v_add_co_u32_e32 v3, vcc, v3, v8
	v_addc_co_u32_e32 v4, vcc, v4, v11, vcc
	v_mul_lo_u32 v8, s0, v4
	v_mul_hi_u32 v11, s0, v3
	v_mul_lo_u32 v12, s1, v3
	v_mul_lo_u32 v13, s0, v3
	v_add_u32_e32 v8, v11, v8
	v_add_u32_e32 v8, v8, v12
	v_mul_lo_u32 v14, v3, v8
	v_mul_hi_u32 v15, v3, v13
	v_mul_hi_u32 v16, v3, v8
	;; [unrolled: 1-line block ×3, first 2 shown]
	v_mul_lo_u32 v13, v4, v13
	v_mul_hi_u32 v11, v4, v8
	v_add_co_u32_e32 v14, vcc, v15, v14
	v_addc_co_u32_e32 v15, vcc, 0, v16, vcc
	v_mul_lo_u32 v8, v4, v8
	v_add_co_u32_e32 v13, vcc, v14, v13
	v_addc_co_u32_e32 v12, vcc, v15, v12, vcc
	v_addc_co_u32_e32 v11, vcc, 0, v11, vcc
	v_add_co_u32_e32 v8, vcc, v12, v8
	v_addc_co_u32_e32 v11, vcc, 0, v11, vcc
	v_add_co_u32_e32 v8, vcc, v3, v8
	v_addc_co_u32_e32 v11, vcc, v4, v11, vcc
	v_mad_u64_u32 v[3:4], s[0:1], v9, v11, 0
	v_mul_hi_u32 v12, v9, v8
	v_add_co_u32_e32 v13, vcc, v12, v3
	v_addc_co_u32_e32 v14, vcc, 0, v4, vcc
	v_mad_u64_u32 v[3:4], s[0:1], v10, v8, 0
	v_mad_u64_u32 v[11:12], s[0:1], v10, v11, 0
	v_add_co_u32_e32 v3, vcc, v13, v3
	v_addc_co_u32_e32 v3, vcc, v14, v4, vcc
	v_addc_co_u32_e32 v4, vcc, 0, v12, vcc
	v_add_co_u32_e32 v8, vcc, v3, v11
	v_addc_co_u32_e32 v11, vcc, 0, v4, vcc
	v_mul_lo_u32 v12, s29, v8
	v_mul_lo_u32 v13, s28, v11
	v_mad_u64_u32 v[3:4], s[0:1], s28, v8, 0
	v_add3_u32 v4, v4, v13, v12
	v_sub_u32_e32 v12, v10, v4
	v_mov_b32_e32 v13, s29
	v_sub_co_u32_e32 v3, vcc, v9, v3
	v_subb_co_u32_e64 v12, s[0:1], v12, v13, vcc
	v_subrev_co_u32_e64 v13, s[0:1], s28, v3
	v_subbrev_co_u32_e64 v12, s[0:1], 0, v12, s[0:1]
	v_cmp_le_u32_e64 s[0:1], s29, v12
	v_cndmask_b32_e64 v14, 0, -1, s[0:1]
	v_cmp_le_u32_e64 s[0:1], s28, v13
	v_cndmask_b32_e64 v13, 0, -1, s[0:1]
	v_cmp_eq_u32_e64 s[0:1], s29, v12
	v_cndmask_b32_e64 v12, v14, v13, s[0:1]
	v_add_co_u32_e64 v13, s[0:1], 2, v8
	v_addc_co_u32_e64 v14, s[0:1], 0, v11, s[0:1]
	v_add_co_u32_e64 v15, s[0:1], 1, v8
	v_addc_co_u32_e64 v16, s[0:1], 0, v11, s[0:1]
	v_subb_co_u32_e32 v4, vcc, v10, v4, vcc
	v_cmp_ne_u32_e64 s[0:1], 0, v12
	v_cmp_le_u32_e32 vcc, s29, v4
	v_cndmask_b32_e64 v12, v16, v14, s[0:1]
	v_cndmask_b32_e64 v14, 0, -1, vcc
	v_cmp_le_u32_e32 vcc, s28, v3
	v_cndmask_b32_e64 v3, 0, -1, vcc
	v_cmp_eq_u32_e32 vcc, s29, v4
	v_cndmask_b32_e32 v3, v14, v3, vcc
	v_cmp_ne_u32_e32 vcc, 0, v3
	v_cndmask_b32_e64 v3, v15, v13, s[0:1]
	v_cndmask_b32_e32 v4, v11, v12, vcc
	v_cndmask_b32_e32 v3, v8, v3, vcc
.LBB0_4:                                ;   in Loop: Header=BB0_2 Depth=1
	s_andn2_saveexec_b64 s[0:1], s[30:31]
	s_cbranch_execz .LBB0_6
; %bb.5:                                ;   in Loop: Header=BB0_2 Depth=1
	v_cvt_f32_u32_e32 v3, s28
	s_sub_i32 s30, 0, s28
	v_rcp_iflag_f32_e32 v3, v3
	v_mul_f32_e32 v3, 0x4f7ffffe, v3
	v_cvt_u32_f32_e32 v3, v3
	v_mul_lo_u32 v4, s30, v3
	v_mul_hi_u32 v4, v3, v4
	v_add_u32_e32 v3, v3, v4
	v_mul_hi_u32 v3, v9, v3
	v_mul_lo_u32 v4, v3, s28
	v_add_u32_e32 v8, 1, v3
	v_sub_u32_e32 v4, v9, v4
	v_subrev_u32_e32 v11, s28, v4
	v_cmp_le_u32_e32 vcc, s28, v4
	v_cndmask_b32_e32 v4, v4, v11, vcc
	v_cndmask_b32_e32 v3, v3, v8, vcc
	v_add_u32_e32 v8, 1, v3
	v_cmp_le_u32_e32 vcc, s28, v4
	v_cndmask_b32_e32 v3, v3, v8, vcc
	v_mov_b32_e32 v4, v7
.LBB0_6:                                ;   in Loop: Header=BB0_2 Depth=1
	s_or_b64 exec, exec, s[0:1]
	v_mul_lo_u32 v8, v4, s28
	v_mul_lo_u32 v13, v3, s29
	v_mad_u64_u32 v[11:12], s[0:1], v3, s28, 0
	s_load_dwordx2 s[0:1], s[22:23], 0x0
	s_load_dwordx2 s[28:29], s[6:7], 0x0
	v_add3_u32 v8, v12, v13, v8
	v_sub_co_u32_e32 v9, vcc, v9, v11
	v_subb_co_u32_e32 v8, vcc, v10, v8, vcc
	s_waitcnt lgkmcnt(0)
	v_mul_lo_u32 v10, s0, v8
	v_mul_lo_u32 v11, s1, v9
	v_mad_u64_u32 v[5:6], s[0:1], s0, v9, v[5:6]
	v_mul_lo_u32 v8, s28, v8
	v_mul_lo_u32 v12, s29, v9
	v_mad_u64_u32 v[1:2], s[0:1], s28, v9, v[1:2]
	s_add_u32 s26, s26, 1
	s_addc_u32 s27, s27, 0
	s_add_u32 s6, s6, 8
	v_add3_u32 v2, v12, v2, v8
	s_addc_u32 s7, s7, 0
	v_mov_b32_e32 v8, s14
	s_add_u32 s22, s22, 8
	v_mov_b32_e32 v9, s15
	s_addc_u32 s23, s23, 0
	v_cmp_ge_u64_e32 vcc, s[26:27], v[8:9]
	s_add_u32 s24, s24, 8
	v_add3_u32 v6, v11, v6, v10
	s_addc_u32 s25, s25, 0
	s_cbranch_vccnz .LBB0_9
; %bb.7:                                ;   in Loop: Header=BB0_2 Depth=1
	v_mov_b32_e32 v10, v4
	v_mov_b32_e32 v9, v3
	s_branch .LBB0_2
.LBB0_8:
	v_mov_b32_e32 v1, v5
	v_mov_b32_e32 v3, v9
	;; [unrolled: 1-line block ×4, first 2 shown]
.LBB0_9:
	s_load_dwordx2 s[0:1], s[4:5], 0x28
	s_lshl_b64 s[14:15], s[14:15], 3
	s_add_u32 s4, s18, s14
	s_addc_u32 s5, s19, s15
                                        ; implicit-def: $sgpr18_sgpr19
                                        ; implicit-def: $vgpr31
                                        ; implicit-def: $vgpr32
                                        ; implicit-def: $vgpr27
                                        ; implicit-def: $vgpr28
	s_waitcnt lgkmcnt(0)
	v_cmp_gt_u64_e32 vcc, s[0:1], v[3:4]
	v_cmp_le_u64_e64 s[0:1], s[0:1], v[3:4]
	s_and_saveexec_b64 s[6:7], s[0:1]
	s_xor_b64 s[0:1], exec, s[6:7]
; %bb.10:
	s_mov_b32 s6, 0x1767dcf
	v_mul_hi_u32 v5, v0, s6
	s_mov_b64 s[18:19], 0
	v_mul_u32_u24_e32 v5, 0xaf, v5
	v_sub_u32_e32 v31, v0, v5
	v_add_u32_e32 v32, 0xaf, v31
	v_add_u32_e32 v27, 0x15e, v31
	;; [unrolled: 1-line block ×3, first 2 shown]
                                        ; implicit-def: $vgpr0
                                        ; implicit-def: $vgpr5_vgpr6
; %bb.11:
	s_or_saveexec_b64 s[6:7], s[0:1]
	v_mov_b32_e32 v7, s18
	v_mov_b32_e32 v26, s19
	;; [unrolled: 1-line block ×10, first 2 shown]
                                        ; implicit-def: $vgpr14
                                        ; implicit-def: $vgpr10
                                        ; implicit-def: $vgpr12
                                        ; implicit-def: $vgpr16
                                        ; implicit-def: $vgpr20
	s_xor_b64 exec, exec, s[6:7]
	s_cbranch_execz .LBB0_13
; %bb.12:
	s_add_u32 s0, s16, s14
	s_mov_b32 s14, 0x1767dcf
	v_mul_hi_u32 v7, v0, s14
	s_addc_u32 s1, s17, s15
	s_load_dwordx2 s[0:1], s[0:1], 0x0
	v_lshlrev_b64 v[5:6], 3, v[5:6]
	v_mul_u32_u24_e32 v7, 0xaf, v7
	v_sub_u32_e32 v31, v0, v7
	v_mad_u64_u32 v[7:8], s[14:15], s20, v31, 0
	s_waitcnt lgkmcnt(0)
	v_mul_lo_u32 v13, s1, v3
	v_mul_lo_u32 v14, s0, v4
	v_mad_u64_u32 v[9:10], s[0:1], s0, v3, 0
	v_mov_b32_e32 v0, v8
	v_mad_u64_u32 v[11:12], s[0:1], s21, v31, v[0:1]
	v_add3_u32 v10, v10, v14, v13
	v_lshlrev_b64 v[9:10], 3, v[9:10]
	v_mov_b32_e32 v8, v11
	v_mov_b32_e32 v0, s9
	v_add_co_u32_e64 v11, s[0:1], s8, v9
	v_add_u32_e32 v12, 0x36b, v31
	v_addc_co_u32_e64 v0, s[0:1], v0, v10, s[0:1]
	v_mad_u64_u32 v[9:10], s[0:1], s20, v12, 0
	v_add_co_u32_e64 v15, s[0:1], v11, v5
	v_addc_co_u32_e64 v16, s[0:1], v0, v6, s[0:1]
	v_mov_b32_e32 v0, v10
	v_add_u32_e32 v32, 0xaf, v31
	v_lshlrev_b64 v[5:6], 3, v[7:8]
	v_mad_u64_u32 v[7:8], s[0:1], s21, v12, v[0:1]
	v_mad_u64_u32 v[11:12], s[0:1], s20, v32, 0
	v_add_co_u32_e64 v5, s[0:1], v15, v5
	v_mov_b32_e32 v10, v7
	v_mov_b32_e32 v0, v12
	v_addc_co_u32_e64 v6, s[0:1], v16, v6, s[0:1]
	v_lshlrev_b64 v[7:8], 3, v[9:10]
	v_mad_u64_u32 v[9:10], s[0:1], s21, v32, v[0:1]
	v_add_u32_e32 v10, 0x41a, v31
	v_mad_u64_u32 v[13:14], s[0:1], s20, v10, 0
	v_add_co_u32_e64 v29, s[0:1], v15, v7
	v_mov_b32_e32 v0, v14
	v_addc_co_u32_e64 v30, s[0:1], v16, v8, s[0:1]
	v_mov_b32_e32 v12, v9
	v_mad_u64_u32 v[9:10], s[0:1], s21, v10, v[0:1]
	v_add_u32_e32 v27, 0x15e, v31
	v_lshlrev_b64 v[7:8], 3, v[11:12]
	v_mad_u64_u32 v[10:11], s[0:1], s20, v27, 0
	v_add_co_u32_e64 v33, s[0:1], v15, v7
	v_mov_b32_e32 v0, v11
	v_addc_co_u32_e64 v34, s[0:1], v16, v8, s[0:1]
	v_mov_b32_e32 v14, v9
	v_mad_u64_u32 v[11:12], s[0:1], s21, v27, v[0:1]
	v_add_u32_e32 v9, 0x4c9, v31
	v_lshlrev_b64 v[7:8], 3, v[13:14]
	v_mad_u64_u32 v[12:13], s[0:1], s20, v9, 0
	v_add_co_u32_e64 v35, s[0:1], v15, v7
	v_mov_b32_e32 v0, v13
	v_addc_co_u32_e64 v36, s[0:1], v16, v8, s[0:1]
	v_lshlrev_b64 v[7:8], 3, v[10:11]
	v_mad_u64_u32 v[9:10], s[0:1], s21, v9, v[0:1]
	v_add_u32_e32 v14, 0x20d, v31
	v_mad_u64_u32 v[10:11], s[0:1], s20, v14, 0
	v_add_co_u32_e64 v37, s[0:1], v15, v7
	v_mov_b32_e32 v13, v9
	v_mov_b32_e32 v0, v11
	v_addc_co_u32_e64 v38, s[0:1], v16, v8, s[0:1]
	v_lshlrev_b64 v[7:8], 3, v[12:13]
	v_mad_u64_u32 v[11:12], s[0:1], s21, v14, v[0:1]
	v_add_u32_e32 v9, 0x578, v31
	v_mad_u64_u32 v[12:13], s[0:1], s20, v9, 0
	v_add_co_u32_e64 v39, s[0:1], v15, v7
	v_mov_b32_e32 v0, v13
	v_addc_co_u32_e64 v40, s[0:1], v16, v8, s[0:1]
	v_lshlrev_b64 v[7:8], 3, v[10:11]
	v_mad_u64_u32 v[9:10], s[0:1], s21, v9, v[0:1]
	v_add_u32_e32 v28, 0x2bc, v31
	v_mad_u64_u32 v[10:11], s[0:1], s20, v28, 0
	v_add_co_u32_e64 v41, s[0:1], v15, v7
	v_mov_b32_e32 v13, v9
	v_mov_b32_e32 v0, v11
	v_addc_co_u32_e64 v42, s[0:1], v16, v8, s[0:1]
	v_lshlrev_b64 v[7:8], 3, v[12:13]
	v_mad_u64_u32 v[11:12], s[0:1], s21, v28, v[0:1]
	v_add_u32_e32 v9, 0x627, v31
	v_mad_u64_u32 v[12:13], s[0:1], s20, v9, 0
	v_add_co_u32_e64 v43, s[0:1], v15, v7
	v_mov_b32_e32 v0, v13
	v_addc_co_u32_e64 v44, s[0:1], v16, v8, s[0:1]
	v_lshlrev_b64 v[7:8], 3, v[10:11]
	v_mad_u64_u32 v[9:10], s[0:1], s21, v9, v[0:1]
	v_add_co_u32_e64 v45, s[0:1], v15, v7
	v_mov_b32_e32 v13, v9
	v_addc_co_u32_e64 v46, s[0:1], v16, v8, s[0:1]
	v_lshlrev_b64 v[7:8], 3, v[12:13]
	v_add_co_u32_e64 v47, s[0:1], v15, v7
	v_addc_co_u32_e64 v48, s[0:1], v16, v8, s[0:1]
	global_load_dwordx2 v[7:8], v[5:6], off
	global_load_dwordx2 v[13:14], v[29:30], off
	global_load_dwordx2 v[25:26], v[33:34], off
	global_load_dwordx2 v[19:20], v[35:36], off
	global_load_dwordx2 v[21:22], v[37:38], off
	global_load_dwordx2 v[15:16], v[39:40], off
	global_load_dwordx2 v[17:18], v[41:42], off
	global_load_dwordx2 v[9:10], v[43:44], off
	global_load_dwordx2 v[23:24], v[45:46], off
	global_load_dwordx2 v[11:12], v[47:48], off
.LBB0_13:
	s_or_b64 exec, exec, s[6:7]
	s_waitcnt vmcnt(8)
	v_sub_f32_e32 v30, v8, v14
	s_waitcnt vmcnt(6)
	v_sub_f32_e32 v20, v26, v20
	v_sub_f32_e32 v6, v7, v13
	v_fma_f32 v29, v8, 2.0, -v30
	v_sub_f32_e32 v8, v25, v19
	v_fma_f32 v19, v26, 2.0, -v20
	s_waitcnt vmcnt(4)
	v_sub_f32_e32 v26, v22, v16
	v_fma_f32 v5, v7, 2.0, -v6
	v_fma_f32 v7, v25, 2.0, -v8
	v_sub_f32_e32 v14, v21, v15
	v_fma_f32 v25, v22, 2.0, -v26
	s_waitcnt vmcnt(2)
	v_sub_f32_e32 v16, v17, v9
	v_sub_f32_e32 v22, v18, v10
	v_lshl_add_u32 v9, v31, 3, 0
	v_fma_f32 v13, v21, 2.0, -v14
	v_fma_f32 v21, v18, 2.0, -v22
	s_waitcnt vmcnt(0)
	v_sub_f32_e32 v18, v23, v11
	ds_write_b64 v9, v[5:6]
	v_lshl_add_u32 v10, v32, 3, 0
	v_lshlrev_b32_e32 v5, 2, v31
	v_lshlrev_b32_e32 v6, 2, v32
	v_fma_f32 v15, v17, 2.0, -v16
	v_sub_f32_e32 v37, v24, v12
	v_fma_f32 v17, v23, 2.0, -v18
	v_lshl_add_u32 v0, v27, 3, 0
	v_lshl_add_u32 v33, v28, 3, 0
	v_sub_u32_e32 v12, v9, v5
	v_lshlrev_b32_e32 v34, 2, v27
	v_lshlrev_b32_e32 v35, 2, v28
	v_sub_u32_e32 v11, v10, v6
	s_load_dwordx2 s[4:5], s[4:5], 0x0
	v_fma_f32 v36, v24, 2.0, -v37
	ds_write_b64 v10, v[7:8]
	ds_write_b64 v0, v[13:14]
	ds_write_b64 v9, v[15:16] offset:4200
	ds_write_b64 v33, v[17:18]
	s_waitcnt lgkmcnt(0)
	s_barrier
	v_sub_u32_e32 v14, v0, v34
	v_sub_u32_e32 v15, v33, v35
	v_add_u32_e32 v13, 0xd00, v12
	v_add_u32_e32 v8, 0x1200, v12
	ds_read_b32 v7, v11
	ds_read_b32 v44, v12
	ds_read_b32 v45, v12 offset:2100
	ds_read_b32 v46, v15
	ds_read_b32 v47, v14
	ds_read_b32 v48, v12 offset:6300
	ds_read2_b32 v[40:41], v13 offset0:43 offset1:218
	ds_read2_b32 v[42:43], v8 offset0:73 offset1:248
	s_waitcnt lgkmcnt(0)
	s_barrier
	ds_write_b64 v9, v[29:30]
	ds_write_b64 v10, v[19:20]
	ds_write_b64 v0, v[25:26]
	ds_write_b64 v9, v[21:22] offset:4200
	ds_write_b64 v33, v[36:37]
	v_and_b32_e32 v30, 1, v31
	v_lshlrev_b32_e32 v28, 5, v30
	s_waitcnt lgkmcnt(0)
	s_barrier
	global_load_dwordx4 v[16:19], v28, s[12:13]
	v_and_b32_e32 v49, 1, v32
	v_lshlrev_b32_e32 v29, 5, v49
	global_load_dwordx4 v[20:23], v29, s[12:13]
	global_load_dwordx4 v[24:27], v28, s[12:13] offset:16
	global_load_dwordx4 v[36:39], v29, s[12:13] offset:16
	ds_read2_b32 v[28:29], v13 offset0:43 offset1:218
	ds_read_b32 v50, v14
	ds_read_b32 v51, v15
	;; [unrolled: 1-line block ×3, first 2 shown]
	ds_read_b32 v53, v12 offset:6300
	ds_read_b32 v54, v12 offset:2100
	ds_read_b32 v55, v12
	s_movk_i32 s0, 0xcd
	s_waitcnt vmcnt(3) lgkmcnt(5)
	v_mul_f32_e32 v56, v50, v17
	v_mul_f32_e32 v17, v47, v17
	s_waitcnt lgkmcnt(4)
	v_mul_f32_e32 v57, v51, v19
	v_mul_f32_e32 v19, v46, v19
	v_fmac_f32_e32 v56, v47, v16
	v_fma_f32 v47, v50, v16, -v17
	v_fmac_f32_e32 v57, v46, v18
	v_fma_f32 v18, v51, v18, -v19
	s_waitcnt vmcnt(2) lgkmcnt(1)
	v_mul_f32_e32 v19, v54, v21
	v_mul_f32_e32 v16, v45, v21
	v_fmac_f32_e32 v19, v45, v20
	v_fma_f32 v45, v54, v20, -v16
	v_mul_f32_e32 v46, v28, v23
	v_mul_f32_e32 v16, v40, v23
	v_fmac_f32_e32 v46, v40, v22
	v_fma_f32 v22, v28, v22, -v16
	ds_read2_b32 v[16:17], v8 offset0:73 offset1:248
	s_waitcnt vmcnt(1)
	v_mul_f32_e32 v21, v41, v25
	v_mul_f32_e32 v20, v29, v25
	v_fma_f32 v23, v29, v24, -v21
	v_fmac_f32_e32 v20, v41, v24
	s_waitcnt lgkmcnt(0)
	v_mul_f32_e32 v21, v17, v27
	v_fmac_f32_e32 v21, v43, v26
	v_mul_f32_e32 v24, v43, v27
	v_sub_f32_e32 v27, v56, v57
	v_sub_f32_e32 v28, v21, v20
	v_add_f32_e32 v27, v27, v28
	v_lshrrev_b32_e32 v28, 1, v31
	v_mul_u32_u24_e32 v28, 10, v28
	v_or_b32_e32 v28, v28, v30
	v_add_f32_e32 v30, v57, v20
	v_fma_f32 v17, v17, v26, -v24
	s_waitcnt vmcnt(0)
	v_mul_f32_e32 v24, v16, v37
	v_mul_f32_e32 v25, v42, v37
	v_fma_f32 v30, -0.5, v30, v44
	v_fmac_f32_e32 v24, v42, v36
	v_fma_f32 v16, v16, v36, -v25
	v_mul_f32_e32 v25, v53, v39
	v_mul_f32_e32 v26, v48, v39
	v_add_f32_e32 v29, v44, v56
	v_sub_f32_e32 v36, v47, v17
	v_mov_b32_e32 v37, v30
	v_fmac_f32_e32 v25, v48, v38
	v_fma_f32 v26, v53, v38, -v26
	v_add_f32_e32 v29, v29, v57
	v_fmac_f32_e32 v37, 0xbf737871, v36
	v_sub_f32_e32 v38, v18, v23
	v_add_f32_e32 v29, v29, v20
	v_fmac_f32_e32 v37, 0xbf167918, v38
	v_add_f32_e32 v29, v29, v21
	v_fmac_f32_e32 v37, 0x3e9e377a, v27
	v_lshl_add_u32 v28, v28, 2, 0
	s_barrier
	ds_write2_b32 v28, v29, v37 offset1:2
	v_add_f32_e32 v29, v56, v21
	v_fmac_f32_e32 v44, -0.5, v29
	v_sub_f32_e32 v29, v57, v56
	v_sub_f32_e32 v37, v20, v21
	v_add_f32_e32 v29, v29, v37
	v_mov_b32_e32 v37, v44
	v_fmac_f32_e32 v37, 0x3f737871, v38
	v_fmac_f32_e32 v44, 0xbf737871, v38
	;; [unrolled: 1-line block ×9, first 2 shown]
	v_sub_f32_e32 v27, v19, v46
	v_lshrrev_b32_e32 v29, 1, v32
	v_sub_f32_e32 v36, v25, v24
	v_mul_lo_u32 v29, v29, 10
	v_add_f32_e32 v27, v27, v36
	v_add_f32_e32 v36, v46, v24
	v_fma_f32 v36, -0.5, v36, v7
	ds_write2_b32 v28, v37, v44 offset0:4 offset1:6
	ds_write_b32 v28, v30 offset:32
	v_add_f32_e32 v30, v7, v19
	v_sub_f32_e32 v37, v45, v26
	v_mov_b32_e32 v38, v36
	v_add_f32_e32 v30, v30, v46
	v_fmac_f32_e32 v38, 0xbf737871, v37
	v_sub_f32_e32 v39, v22, v16
	v_or_b32_e32 v29, v29, v49
	v_add_f32_e32 v30, v30, v24
	v_fmac_f32_e32 v38, 0xbf167918, v39
	v_add_f32_e32 v30, v30, v25
	v_fmac_f32_e32 v38, 0x3e9e377a, v27
	v_lshl_add_u32 v29, v29, 2, 0
	ds_write2_b32 v29, v30, v38 offset1:2
	v_add_f32_e32 v30, v19, v25
	v_fmac_f32_e32 v7, -0.5, v30
	v_sub_f32_e32 v30, v46, v19
	v_sub_f32_e32 v38, v24, v25
	v_add_f32_e32 v30, v30, v38
	v_mov_b32_e32 v38, v7
	v_fmac_f32_e32 v38, 0x3f737871, v39
	v_fmac_f32_e32 v7, 0xbf737871, v39
	;; [unrolled: 1-line block ×6, first 2 shown]
	ds_write2_b32 v29, v38, v7 offset0:4 offset1:6
	v_sub_f32_e32 v38, v57, v20
	v_sub_f32_e32 v7, v47, v18
	;; [unrolled: 1-line block ×3, first 2 shown]
	v_add_f32_e32 v40, v7, v20
	v_add_f32_e32 v7, v55, v47
	v_fmac_f32_e32 v36, 0x3f737871, v37
	v_add_f32_e32 v7, v7, v18
	v_fmac_f32_e32 v36, 0x3f167918, v39
	;; [unrolled: 2-line block ×3, first 2 shown]
	v_add_f32_e32 v27, v7, v17
	v_add_f32_e32 v7, v18, v23
	v_fma_f32 v39, -0.5, v7, v55
	v_sub_f32_e32 v30, v56, v21
	v_mov_b32_e32 v41, v39
	v_fmac_f32_e32 v41, 0x3f737871, v30
	v_fmac_f32_e32 v41, 0x3f167918, v38
	;; [unrolled: 1-line block ×3, first 2 shown]
	ds_write_b32 v29, v36 offset:32
	s_waitcnt lgkmcnt(0)
	s_barrier
	ds_read_b32 v43, v12
	ds_read_b32 v42, v12 offset:2100
	ds_read_b32 v44, v15
	ds_read_b32 v7, v11
	;; [unrolled: 1-line block ×3, first 2 shown]
	ds_read_b32 v58, v12 offset:6300
	ds_read2_b32 v[20:21], v13 offset0:43 offset1:218
	ds_read2_b32 v[36:37], v8 offset0:73 offset1:248
	s_waitcnt lgkmcnt(0)
	s_barrier
	ds_write2_b32 v28, v27, v41 offset1:2
	v_add_f32_e32 v27, v47, v17
	v_fmac_f32_e32 v55, -0.5, v27
	v_sub_f32_e32 v18, v18, v47
	v_sub_f32_e32 v17, v23, v17
	v_add_f32_e32 v17, v18, v17
	v_mov_b32_e32 v18, v55
	v_fmac_f32_e32 v18, 0xbf737871, v38
	v_fmac_f32_e32 v55, 0x3f737871, v38
	;; [unrolled: 1-line block ×6, first 2 shown]
	ds_write2_b32 v28, v18, v55 offset0:4 offset1:6
	v_sub_f32_e32 v18, v46, v24
	v_add_f32_e32 v24, v22, v16
	v_sub_f32_e32 v17, v19, v25
	v_sub_f32_e32 v19, v45, v22
	v_sub_f32_e32 v23, v26, v16
	v_fma_f32 v24, -0.5, v24, v52
	v_add_f32_e32 v19, v19, v23
	v_add_f32_e32 v23, v52, v45
	v_mov_b32_e32 v25, v24
	v_fmac_f32_e32 v39, 0xbf737871, v30
	v_add_f32_e32 v23, v23, v22
	v_fmac_f32_e32 v25, 0x3f737871, v17
	v_fmac_f32_e32 v39, 0xbf167918, v38
	v_add_f32_e32 v23, v23, v16
	v_fmac_f32_e32 v25, 0x3f167918, v18
	;; [unrolled: 3-line block ×3, first 2 shown]
	ds_write_b32 v28, v39 offset:32
	ds_write2_b32 v29, v23, v25 offset1:2
	v_add_f32_e32 v23, v45, v26
	v_fmac_f32_e32 v52, -0.5, v23
	v_sub_f32_e32 v22, v22, v45
	v_sub_f32_e32 v16, v16, v26
	v_add_f32_e32 v16, v22, v16
	v_mov_b32_e32 v22, v52
	v_fmac_f32_e32 v22, 0xbf737871, v18
	v_fmac_f32_e32 v52, 0x3f737871, v18
	v_fmac_f32_e32 v22, 0x3f167918, v17
	v_fmac_f32_e32 v52, 0xbf167918, v17
	v_fmac_f32_e32 v22, 0x3e9e377a, v16
	v_fmac_f32_e32 v52, 0x3e9e377a, v16
	v_mul_lo_u16_sdwa v16, v31, s0 dst_sel:DWORD dst_unused:UNUSED_PAD src0_sel:BYTE_0 src1_sel:DWORD
	ds_write2_b32 v29, v22, v52 offset0:4 offset1:6
	v_lshrrev_b16_e32 v22, 11, v16
	v_fmac_f32_e32 v24, 0xbf737871, v17
	v_mul_lo_u16_e32 v16, 10, v22
	v_fmac_f32_e32 v24, 0xbf167918, v18
	v_sub_u16_e32 v38, v31, v16
	v_mov_b32_e32 v16, 5
	v_fmac_f32_e32 v24, 0x3e9e377a, v19
	v_lshlrev_b32_sdwa v23, v16, v38 dst_sel:DWORD dst_unused:UNUSED_PAD src0_sel:DWORD src1_sel:BYTE_0
	ds_write_b32 v29, v24 offset:32
	s_waitcnt lgkmcnt(0)
	s_barrier
	global_load_dwordx4 v[16:19], v23, s[12:13] offset:64
	s_mov_b32 s0, 0xcccd
	v_mul_u32_u24_sdwa v24, v32, s0 dst_sel:DWORD dst_unused:UNUSED_PAD src0_sel:WORD_0 src1_sel:DWORD
	v_lshrrev_b32_e32 v45, 19, v24
	v_mul_lo_u16_e32 v24, 10, v45
	v_sub_u16_e32 v59, v32, v24
	v_lshlrev_b32_e32 v28, 5, v59
	global_load_dwordx4 v[24:27], v28, s[12:13] offset:64
	global_load_dwordx4 v[50:53], v23, s[12:13] offset:80
	;; [unrolled: 1-line block ×3, first 2 shown]
	ds_read_b32 v14, v14
	ds_read_b32 v15, v15
	;; [unrolled: 1-line block ×3, first 2 shown]
	ds_read_b32 v28, v12 offset:6300
	s_movk_i32 s0, 0x4b
	v_cmp_gt_u32_e64 s[0:1], s0, v31
	s_waitcnt vmcnt(3) lgkmcnt(3)
	v_mul_f32_e32 v46, v14, v17
	v_mul_f32_e32 v17, v48, v17
	v_fmac_f32_e32 v46, v48, v16
	v_fma_f32 v39, v14, v16, -v17
	ds_read_b32 v16, v12 offset:2100
	v_mul_f32_e32 v14, v44, v19
	s_waitcnt lgkmcnt(3)
	v_fma_f32 v40, v15, v18, -v14
	ds_read2_b32 v[13:14], v13 offset0:43 offset1:218
	ds_read_b32 v23, v12
	v_mul_f32_e32 v47, v15, v19
	s_waitcnt vmcnt(2) lgkmcnt(2)
	v_mul_f32_e32 v29, v16, v25
	v_mul_f32_e32 v15, v42, v25
	v_fmac_f32_e32 v29, v42, v24
	v_fma_f32 v24, v16, v24, -v15
	v_mul_f32_e32 v15, v20, v27
	s_waitcnt lgkmcnt(1)
	v_fma_f32 v25, v13, v26, -v15
	ds_read2_b32 v[15:16], v8 offset0:73 offset1:248
	s_waitcnt vmcnt(1)
	v_mul_f32_e32 v8, v21, v51
	v_fmac_f32_e32 v47, v44, v18
	v_mul_f32_e32 v49, v14, v51
	v_fma_f32 v44, v14, v50, -v8
	v_mul_f32_e32 v8, v37, v53
	v_fmac_f32_e32 v49, v21, v50
	s_waitcnt lgkmcnt(0)
	v_mul_f32_e32 v50, v16, v53
	v_fma_f32 v48, v16, v52, -v8
	s_waitcnt vmcnt(0)
	v_mul_f32_e32 v8, v36, v55
	v_mul_f32_e32 v30, v13, v27
	v_fmac_f32_e32 v50, v37, v52
	v_fma_f32 v27, v15, v54, -v8
	v_mul_f32_e32 v8, v58, v57
	v_mul_f32_e32 v42, v28, v57
	v_fma_f32 v28, v28, v56, -v8
	v_mov_b32_e32 v8, 2
	v_sub_f32_e32 v13, v46, v47
	v_sub_f32_e32 v14, v50, v49
	v_lshlrev_b32_sdwa v8, v8, v38 dst_sel:DWORD dst_unused:UNUSED_PAD src0_sel:DWORD src1_sel:BYTE_0
	v_add_f32_e32 v13, v13, v14
	v_mul_u32_u24_e32 v14, 0xc8, v22
	v_fmac_f32_e32 v30, v20, v26
	v_add3_u32 v26, 0, v14, v8
	v_add_f32_e32 v14, v47, v49
	v_fma_f32 v14, -0.5, v14, v43
	v_mul_f32_e32 v41, v15, v55
	v_add_f32_e32 v8, v43, v46
	v_sub_f32_e32 v15, v39, v48
	v_mov_b32_e32 v16, v14
	v_add_f32_e32 v8, v8, v47
	v_fmac_f32_e32 v16, 0xbf737871, v15
	v_sub_f32_e32 v17, v40, v44
	v_add_f32_e32 v8, v8, v49
	v_fmac_f32_e32 v16, 0xbf167918, v17
	v_add_f32_e32 v8, v8, v50
	v_fmac_f32_e32 v16, 0x3e9e377a, v13
	s_barrier
	ds_write2_b32 v26, v8, v16 offset1:10
	v_add_f32_e32 v8, v46, v50
	v_fmac_f32_e32 v43, -0.5, v8
	v_sub_f32_e32 v8, v47, v46
	v_sub_f32_e32 v16, v49, v50
	v_add_f32_e32 v8, v8, v16
	v_mov_b32_e32 v16, v43
	v_fmac_f32_e32 v16, 0x3f737871, v17
	v_fmac_f32_e32 v43, 0xbf737871, v17
	;; [unrolled: 1-line block ×11, first 2 shown]
	v_add_f32_e32 v8, v30, v41
	v_sub_f32_e32 v13, v29, v30
	v_sub_f32_e32 v15, v42, v41
	v_fma_f32 v8, -0.5, v8, v7
	v_add_f32_e32 v13, v13, v15
	ds_write_b32 v26, v14 offset:160
	v_lshlrev_b32_e32 v14, 2, v59
	v_mul_u32_u24_e32 v15, 0xc8, v45
	ds_write2_b32 v26, v16, v43 offset0:20 offset1:30
	v_add3_u32 v45, 0, v15, v14
	v_sub_f32_e32 v15, v24, v28
	v_mov_b32_e32 v16, v8
	v_fmac_f32_e32 v16, 0xbf737871, v15
	v_sub_f32_e32 v17, v25, v27
	v_fmac_f32_e32 v8, 0x3f737871, v15
	v_add_f32_e32 v14, v7, v29
	v_fmac_f32_e32 v16, 0xbf167918, v17
	v_fmac_f32_e32 v8, 0x3f167918, v17
	v_add_f32_e32 v14, v14, v30
	v_fmac_f32_e32 v16, 0x3e9e377a, v13
	v_fmac_f32_e32 v8, 0x3e9e377a, v13
	v_add_f32_e32 v13, v29, v42
	v_add_f32_e32 v14, v14, v41
	v_fmac_f32_e32 v7, -0.5, v13
	v_add_f32_e32 v14, v14, v42
	v_mov_b32_e32 v38, v7
	ds_write2_b32 v45, v14, v16 offset1:10
	v_sub_f32_e32 v13, v30, v29
	v_sub_f32_e32 v14, v41, v42
	v_fmac_f32_e32 v38, 0x3f737871, v17
	v_fmac_f32_e32 v7, 0xbf737871, v17
	v_add_f32_e32 v13, v13, v14
	v_fmac_f32_e32 v38, 0xbf167918, v15
	v_fmac_f32_e32 v7, 0x3f167918, v15
	;; [unrolled: 1-line block ×4, first 2 shown]
	v_sub_u32_e32 v13, 0, v6
	v_add_u32_e32 v37, v10, v13
	ds_write2_b32 v45, v38, v7 offset0:20 offset1:30
	ds_write_b32 v45, v8 offset:160
	s_waitcnt lgkmcnt(0)
	s_barrier
	v_add_u32_e32 v10, 0x7c0, v12
	v_add_u32_e32 v15, 0xfa0, v12
	ds_read_b32 v43, v12 offset:6000
	ds_read2_b32 v[13:14], v12 offset1:250
	ds_read2_b32 v[21:22], v10 offset0:4 offset1:254
	ds_read2_b32 v[19:20], v15 offset1:250
	v_sub_u32_e32 v10, 0, v5
	v_add_u32_e32 v36, v9, v10
                                        ; implicit-def: $vgpr18
                                        ; implicit-def: $vgpr16
	s_and_saveexec_b64 s[6:7], s[0:1]
	s_cbranch_execz .LBB0_15
; %bb.14:
	v_add_u32_e32 v9, 0xe60, v36
	v_add_u32_e32 v7, 0x6a0, v36
	ds_read2_b32 v[17:18], v9 offset0:5 offset1:255
	v_add_u32_e32 v9, 0x1640, v36
	ds_read_b32 v38, v37
	ds_read2_b32 v[7:8], v7 offset0:1 offset1:251
	ds_read2_b32 v[15:16], v9 offset0:1 offset1:251
.LBB0_15:
	s_or_b64 exec, exec, s[6:7]
	v_add_f32_e32 v10, v40, v44
	v_fma_f32 v10, -0.5, v10, v23
	v_sub_f32_e32 v12, v46, v50
	v_mov_b32_e32 v46, v10
	v_fmac_f32_e32 v46, 0x3f737871, v12
	v_sub_f32_e32 v47, v47, v49
	v_sub_f32_e32 v49, v39, v40
	;; [unrolled: 1-line block ×3, first 2 shown]
	v_fmac_f32_e32 v10, 0xbf737871, v12
	v_fmac_f32_e32 v46, 0x3f167918, v47
	v_add_f32_e32 v49, v49, v50
	v_fmac_f32_e32 v10, 0xbf167918, v47
	v_fmac_f32_e32 v46, 0x3e9e377a, v49
	;; [unrolled: 1-line block ×3, first 2 shown]
	v_add_f32_e32 v49, v39, v48
	v_add_f32_e32 v9, v23, v39
	v_fmac_f32_e32 v23, -0.5, v49
	v_mov_b32_e32 v49, v23
	v_fmac_f32_e32 v49, 0xbf737871, v47
	v_fmac_f32_e32 v23, 0x3f737871, v47
	;; [unrolled: 1-line block ×4, first 2 shown]
	v_add_f32_e32 v12, v11, v24
	v_add_f32_e32 v12, v12, v25
	;; [unrolled: 1-line block ×3, first 2 shown]
	v_sub_f32_e32 v39, v40, v39
	v_sub_f32_e32 v40, v44, v48
	v_add_f32_e32 v12, v12, v27
	v_add_f32_e32 v39, v39, v40
	;; [unrolled: 1-line block ×4, first 2 shown]
	v_fma_f32 v12, -0.5, v12, v11
	v_sub_f32_e32 v29, v29, v42
	v_mov_b32_e32 v42, v12
	v_fmac_f32_e32 v49, 0x3e9e377a, v39
	v_fmac_f32_e32 v23, 0x3e9e377a, v39
	;; [unrolled: 1-line block ×3, first 2 shown]
	v_sub_f32_e32 v30, v30, v41
	v_sub_f32_e32 v39, v24, v25
	;; [unrolled: 1-line block ×3, first 2 shown]
	v_fmac_f32_e32 v12, 0xbf737871, v29
	v_fmac_f32_e32 v42, 0x3f167918, v30
	v_add_f32_e32 v39, v39, v41
	v_fmac_f32_e32 v12, 0xbf167918, v30
	v_fmac_f32_e32 v42, 0x3e9e377a, v39
	;; [unrolled: 1-line block ×3, first 2 shown]
	v_add_f32_e32 v39, v24, v28
	v_fmac_f32_e32 v11, -0.5, v39
	v_mov_b32_e32 v39, v11
	v_add_f32_e32 v9, v9, v44
	v_fmac_f32_e32 v39, 0xbf737871, v30
	v_sub_f32_e32 v24, v25, v24
	v_sub_f32_e32 v25, v27, v28
	v_fmac_f32_e32 v11, 0x3f737871, v30
	v_add_f32_e32 v9, v9, v48
	v_fmac_f32_e32 v39, 0x3f167918, v29
	v_add_f32_e32 v24, v24, v25
	v_fmac_f32_e32 v11, 0xbf167918, v29
	v_fmac_f32_e32 v39, 0x3e9e377a, v24
	;; [unrolled: 1-line block ×3, first 2 shown]
	s_waitcnt lgkmcnt(0)
	s_barrier
	ds_write2_b32 v26, v9, v46 offset1:10
	ds_write2_b32 v26, v49, v23 offset0:20 offset1:30
	ds_write_b32 v26, v10 offset:160
	ds_write2_b32 v45, v40, v42 offset1:10
	ds_write2_b32 v45, v39, v11 offset0:20 offset1:30
	ds_write_b32 v45, v12 offset:160
	v_add_u32_e32 v23, 0x7c0, v36
	s_waitcnt lgkmcnt(0)
	s_barrier
	ds_read2_b32 v[29:30], v23 offset0:4 offset1:254
	v_add_u32_e32 v23, 0xfa0, v36
	ds_read2_b32 v[9:10], v36 offset1:250
	ds_read2_b32 v[27:28], v23 offset1:250
	ds_read_b32 v44, v36 offset:6000
                                        ; implicit-def: $vgpr26
                                        ; implicit-def: $vgpr24
	s_and_saveexec_b64 s[6:7], s[0:1]
	s_cbranch_execz .LBB0_17
; %bb.16:
	v_add_u32_e32 v23, 0xe60, v36
	v_add_u32_e32 v11, 0x6a0, v36
	ds_read2_b32 v[25:26], v23 offset0:5 offset1:255
	v_add_u32_e32 v23, 0x1640, v36
	ds_read_b32 v39, v37
	ds_read2_b32 v[11:12], v11 offset0:1 offset1:251
	ds_read2_b32 v[23:24], v23 offset0:1 offset1:251
.LBB0_17:
	s_or_b64 exec, exec, s[6:7]
	v_sub_u32_e32 v40, 0, v34
	v_sub_u32_e32 v34, 0, v35
	v_mov_b32_e32 v35, 41
	v_mul_lo_u16_sdwa v41, v31, v35 dst_sel:DWORD dst_unused:UNUSED_PAD src0_sel:BYTE_0 src1_sel:DWORD
	v_lshrrev_b16_e32 v58, 11, v41
	v_mul_lo_u16_e32 v41, 50, v58
	v_sub_u16_e32 v59, v31, v41
	v_mov_b32_e32 v41, 6
	v_mul_u32_u24_sdwa v41, v59, v41 dst_sel:DWORD dst_unused:UNUSED_PAD src0_sel:BYTE_0 src1_sel:DWORD
	v_lshlrev_b32_e32 v41, 3, v41
	global_load_dwordx4 v[45:48], v41, s[12:13] offset:416
	global_load_dwordx4 v[49:52], v41, s[12:13] offset:400
	;; [unrolled: 1-line block ×3, first 2 shown]
	s_mov_b32 s8, 0xbf5ff5aa
	s_mov_b32 s9, 0x3f3bfb3b
	s_mov_b32 s14, 0xbf3bfb3b
	s_mov_b32 s15, 0x3eae86e6
	s_waitcnt vmcnt(2) lgkmcnt(0)
	v_mul_f32_e32 v42, v44, v48
	v_fmac_f32_e32 v42, v43, v47
	s_waitcnt vmcnt(0)
	v_mul_f32_e32 v41, v10, v54
	v_fmac_f32_e32 v41, v14, v53
	v_mul_f32_e32 v14, v14, v54
	v_fma_f32 v14, v10, v53, -v14
	v_mul_f32_e32 v10, v29, v56
	v_fmac_f32_e32 v10, v21, v55
	v_mul_f32_e32 v21, v21, v56
	v_fma_f32 v29, v29, v55, -v21
	;; [unrolled: 4-line block ×5, first 2 shown]
	v_mul_f32_e32 v28, v43, v48
	v_fma_f32 v44, v44, v47, -v28
	v_lshrrev_b16_e32 v28, 1, v32
	v_mul_u32_u24_e32 v28, 0x147b, v28
	v_lshrrev_b32_e32 v28, 17, v28
	v_mul_lo_u16_e32 v28, 50, v28
	v_sub_u16_e32 v60, v32, v28
	v_mul_u32_u24_e32 v28, 6, v60
	v_lshlrev_b32_e32 v28, 3, v28
	global_load_dwordx4 v[46:49], v28, s[12:13] offset:416
	global_load_dwordx4 v[50:53], v28, s[12:13] offset:400
	;; [unrolled: 1-line block ×3, first 2 shown]
	s_waitcnt vmcnt(0)
	s_barrier
	v_mul_f32_e32 v28, v11, v55
	v_fmac_f32_e32 v28, v7, v54
	v_mul_f32_e32 v7, v7, v55
	v_fma_f32 v43, v11, v54, -v7
	v_mul_f32_e32 v7, v12, v57
	v_fmac_f32_e32 v7, v8, v56
	v_mul_f32_e32 v8, v8, v57
	v_fma_f32 v45, v12, v56, -v8
	v_mul_f32_e32 v12, v25, v51
	v_mul_f32_e32 v8, v17, v51
	v_fmac_f32_e32 v12, v17, v50
	v_fma_f32 v17, v25, v50, -v8
	v_mul_f32_e32 v25, v26, v53
	v_mul_f32_e32 v8, v18, v53
	v_fmac_f32_e32 v25, v18, v52
	;; [unrolled: 4-line block ×4, first 2 shown]
	v_fma_f32 v16, v24, v48, -v8
	v_add_f32_e32 v8, v41, v42
	v_add_f32_e32 v24, v10, v27
	;; [unrolled: 1-line block ×4, first 2 shown]
	v_sub_f32_e32 v11, v14, v44
	v_sub_f32_e32 v46, v29, v20
	v_sub_f32_e32 v48, v19, v22
	v_sub_f32_e32 v50, v24, v8
	v_sub_f32_e32 v8, v8, v47
	v_sub_f32_e32 v24, v47, v24
	v_add_f32_e32 v47, v47, v49
	v_add_f32_e32 v51, v48, v46
	v_sub_f32_e32 v52, v48, v46
	v_sub_f32_e32 v46, v46, v11
	v_add_f32_e32 v13, v13, v47
	v_sub_f32_e32 v48, v11, v48
	v_add_f32_e32 v11, v51, v11
	v_mul_f32_e32 v8, 0x3f4a47b2, v8
	v_mul_f32_e32 v49, 0x3d64c772, v24
	;; [unrolled: 1-line block ×4, first 2 shown]
	v_mov_b32_e32 v53, v13
	v_fmac_f32_e32 v53, 0xbf955555, v47
	v_fma_f32 v47, v50, s9, -v49
	v_fma_f32 v49, v50, s14, -v8
	v_fmac_f32_e32 v8, 0x3d64c772, v24
	v_fma_f32 v24, v46, s8, -v51
	v_fma_f32 v46, v48, s15, -v52
	v_fmac_f32_e32 v51, 0xbeae86e6, v48
	v_add_f32_e32 v48, v49, v53
	v_fmac_f32_e32 v46, 0xbee1c552, v11
	v_add_f32_e32 v47, v47, v53
	;; [unrolled: 2-line block ×3, first 2 shown]
	v_sub_f32_e32 v46, v48, v46
	v_mov_b32_e32 v48, 2
	v_add_f32_e32 v8, v8, v53
	v_fmac_f32_e32 v51, 0xbee1c552, v11
	v_sub_f32_e32 v50, v47, v24
	v_add_f32_e32 v24, v24, v47
	v_mul_u32_u24_e32 v47, 0x578, v58
	v_lshlrev_b32_sdwa v48, v48, v59 dst_sel:DWORD dst_unused:UNUSED_PAD src0_sel:DWORD src1_sel:BYTE_0
	v_add_f32_e32 v11, v51, v8
	v_add3_u32 v47, 0, v47, v48
	v_sub_f32_e32 v8, v8, v51
	ds_write2_b32 v47, v13, v11 offset1:50
	ds_write2_b32 v47, v49, v50 offset0:100 offset1:150
	ds_write2_b32 v47, v24, v46 offset0:200 offset1:250
	ds_write_b32 v47, v8 offset:1200
	v_lshlrev_b32_e32 v46, 2, v60
	s_and_saveexec_b64 s[6:7], s[0:1]
	s_cbranch_execz .LBB0_19
; %bb.18:
	v_add_f32_e32 v8, v28, v23
	v_add_f32_e32 v11, v12, v25
	v_sub_f32_e32 v13, v8, v11
	v_mul_f32_e32 v13, 0x3f4a47b2, v13
	v_add_f32_e32 v24, v7, v26
	v_sub_f32_e32 v48, v11, v24
	v_mov_b32_e32 v50, v13
	v_mul_f32_e32 v49, 0x3d64c772, v48
	v_fmac_f32_e32 v50, 0x3d64c772, v48
	v_add_f32_e32 v48, v24, v8
	v_add_f32_e32 v11, v11, v48
	;; [unrolled: 1-line block ×3, first 2 shown]
	v_mov_b32_e32 v48, v38
	v_fmac_f32_e32 v48, 0xbf955555, v11
	v_sub_f32_e32 v51, v18, v17
	v_sub_f32_e32 v53, v45, v15
	v_add_f32_e32 v11, v50, v48
	v_sub_f32_e32 v50, v43, v16
	v_sub_f32_e32 v54, v51, v53
	;; [unrolled: 1-line block ×3, first 2 shown]
	v_mul_f32_e32 v54, 0x3f08b237, v54
	v_add_f32_e32 v51, v51, v53
	v_sub_f32_e32 v8, v24, v8
	v_sub_f32_e32 v24, v53, v50
	v_add_f32_e32 v51, v51, v50
	v_fma_f32 v13, v8, s14, -v13
	v_mul_f32_e32 v50, 0xbf5ff5aa, v24
	v_fma_f32 v24, v24, s8, -v54
	v_fma_f32 v8, v8, s9, -v49
	v_fmac_f32_e32 v24, 0xbee1c552, v51
	v_add_f32_e32 v8, v8, v48
	v_mov_b32_e32 v55, v54
	v_add_f32_e32 v13, v13, v48
	v_add_f32_e32 v48, v24, v8
	v_sub_f32_e32 v8, v8, v24
	v_mul_lo_u16_sdwa v24, v32, v35 dst_sel:DWORD dst_unused:UNUSED_PAD src0_sel:BYTE_0 src1_sel:DWORD
	v_fmac_f32_e32 v55, 0xbeae86e6, v52
	v_lshrrev_b16_e32 v24, 11, v24
	v_fmac_f32_e32 v55, 0xbee1c552, v51
	v_fma_f32 v50, v52, s15, -v50
	v_mul_u32_u24_e32 v24, 0x578, v24
	v_sub_f32_e32 v56, v11, v55
	v_fmac_f32_e32 v50, 0xbee1c552, v51
	v_add_f32_e32 v11, v55, v11
	v_add3_u32 v24, 0, v24, v46
	v_sub_f32_e32 v52, v13, v50
	v_add_f32_e32 v13, v50, v13
	ds_write2_b32 v24, v38, v11 offset1:50
	ds_write2_b32 v24, v13, v8 offset0:100 offset1:150
	ds_write2_b32 v24, v48, v52 offset0:200 offset1:250
	ds_write_b32 v24, v56 offset:1200
.LBB0_19:
	s_or_b64 exec, exec, s[6:7]
	v_add_f32_e32 v8, v14, v44
	v_add_f32_e32 v13, v29, v20
	;; [unrolled: 1-line block ×4, first 2 shown]
	v_sub_f32_e32 v11, v41, v42
	v_sub_f32_e32 v10, v10, v27
	;; [unrolled: 1-line block ×6, first 2 shown]
	v_add_f32_e32 v14, v14, v20
	v_add_f32_e32 v22, v19, v10
	v_sub_f32_e32 v24, v19, v10
	v_sub_f32_e32 v10, v10, v11
	v_add_f32_e32 v27, v9, v14
	v_sub_f32_e32 v19, v11, v19
	v_add_f32_e32 v11, v22, v11
	v_mul_f32_e32 v8, 0x3f4a47b2, v8
	v_mul_f32_e32 v9, 0x3d64c772, v13
	;; [unrolled: 1-line block ×4, first 2 shown]
	v_mov_b32_e32 v24, v27
	v_fmac_f32_e32 v24, 0xbf955555, v14
	v_fma_f32 v9, v21, s9, -v9
	v_fma_f32 v14, v21, s14, -v8
	v_fmac_f32_e32 v8, 0x3d64c772, v13
	v_fma_f32 v10, v10, s8, -v20
	v_fmac_f32_e32 v20, 0xbeae86e6, v19
	v_fma_f32 v13, v19, s15, -v22
	v_add_f32_e32 v8, v8, v24
	v_add_f32_e32 v9, v9, v24
	;; [unrolled: 1-line block ×3, first 2 shown]
	v_fmac_f32_e32 v20, 0xbee1c552, v11
	v_fmac_f32_e32 v10, 0xbee1c552, v11
	;; [unrolled: 1-line block ×3, first 2 shown]
	v_add_u32_e32 v19, v0, v40
	v_add_u32_e32 v0, 0xd00, v36
	v_sub_f32_e32 v29, v8, v20
	v_sub_f32_e32 v30, v14, v13
	v_add_f32_e32 v35, v10, v9
	v_sub_f32_e32 v38, v9, v10
	v_add_f32_e32 v41, v13, v14
	v_add_f32_e32 v42, v20, v8
	s_waitcnt lgkmcnt(0)
	s_barrier
	v_add_u32_e32 v20, v33, v34
	ds_read_b32 v14, v19
	ds_read_b32 v13, v20
	ds_read2_b32 v[8:9], v0 offset0:43 offset1:218
	v_add_u32_e32 v0, 0x1200, v36
	ds_read2_b32 v[10:11], v0 offset0:73 offset1:248
	ds_read_b32 v22, v36 offset:2100
	ds_read_b32 v24, v36 offset:6300
	ds_read_b32 v0, v36
	ds_read_b32 v21, v37
	s_waitcnt lgkmcnt(0)
	s_barrier
	ds_write2_b32 v47, v27, v29 offset1:50
	ds_write2_b32 v47, v30, v35 offset0:100 offset1:150
	ds_write2_b32 v47, v38, v41 offset0:200 offset1:250
	ds_write_b32 v47, v42 offset:1200
	s_and_saveexec_b64 s[6:7], s[0:1]
	s_cbranch_execz .LBB0_21
; %bb.20:
	v_add_f32_e32 v16, v43, v16
	v_add_f32_e32 v15, v45, v15
	v_sub_f32_e32 v7, v7, v26
	v_add_f32_e32 v17, v17, v18
	v_sub_f32_e32 v12, v25, v12
	;; [unrolled: 2-line block ×3, first 2 shown]
	v_sub_f32_e32 v25, v15, v16
	v_sub_f32_e32 v16, v16, v17
	;; [unrolled: 1-line block ×3, first 2 shown]
	v_add_f32_e32 v26, v12, v7
	v_add_f32_e32 v17, v17, v18
	v_sub_f32_e32 v27, v12, v7
	v_sub_f32_e32 v12, v23, v12
	;; [unrolled: 1-line block ×3, first 2 shown]
	v_add_f32_e32 v18, v26, v23
	v_add_f32_e32 v23, v39, v17
	v_mul_f32_e32 v26, 0x3d64c772, v15
	v_mov_b32_e32 v29, v23
	s_mov_b32 s1, 0x3f3bfb3b
	v_mul_f32_e32 v16, 0x3f4a47b2, v16
	v_mul_f32_e32 v27, 0x3f08b237, v27
	s_mov_b32 s0, 0xbf5ff5aa
	v_fmac_f32_e32 v29, 0xbf955555, v17
	v_fma_f32 v17, v25, s1, -v26
	s_mov_b32 s1, 0xbf3bfb3b
	v_mul_f32_e32 v28, 0xbf5ff5aa, v7
	v_fma_f32 v25, v25, s1, -v16
	v_fmac_f32_e32 v16, 0x3d64c772, v15
	v_fma_f32 v7, v7, s0, -v27
	v_add_f32_e32 v15, v16, v29
	v_add_f32_e32 v16, v17, v29
	v_fmac_f32_e32 v7, 0xbee1c552, v18
	v_add_f32_e32 v26, v7, v16
	v_sub_f32_e32 v7, v16, v7
	v_mov_b32_e32 v16, 41
	v_mul_lo_u16_sdwa v16, v32, v16 dst_sel:DWORD dst_unused:UNUSED_PAD src0_sel:BYTE_0 src1_sel:DWORD
	v_fmac_f32_e32 v27, 0xbeae86e6, v12
	s_mov_b32 s0, 0x3eae86e6
	v_lshrrev_b16_e32 v16, 11, v16
	v_fma_f32 v12, v12, s0, -v28
	v_fmac_f32_e32 v27, 0xbee1c552, v18
	v_mul_u32_u24_e32 v16, 0x578, v16
	v_add_f32_e32 v17, v25, v29
	v_fmac_f32_e32 v12, 0xbee1c552, v18
	v_sub_f32_e32 v18, v15, v27
	v_add3_u32 v16, 0, v16, v46
	v_sub_f32_e32 v25, v17, v12
	v_add_f32_e32 v12, v12, v17
	v_add_f32_e32 v15, v27, v15
	ds_write2_b32 v16, v23, v18 offset1:50
	ds_write2_b32 v16, v25, v26 offset0:100 offset1:150
	ds_write2_b32 v16, v7, v12 offset0:200 offset1:250
	ds_write_b32 v16, v15 offset:1200
.LBB0_21:
	s_or_b64 exec, exec, s[6:7]
	s_waitcnt lgkmcnt(0)
	s_barrier
	s_and_saveexec_b64 s[0:1], vcc
	s_cbranch_execz .LBB0_23
; %bb.22:
	v_mov_b32_e32 v7, 0
	v_lshlrev_b64 v[15:16], 3, v[6:7]
	v_mov_b32_e32 v12, s13
	v_add_co_u32_e32 v29, vcc, s12, v15
	v_addc_co_u32_e32 v30, vcc, v12, v16, vcc
	global_load_dwordx4 v[15:18], v[29:30], off offset:2784
	global_load_dwordx4 v[25:28], v[29:30], off offset:2800
	v_mul_lo_u32 v23, s5, v3
	v_mul_lo_u32 v42, s4, v4
	v_mad_u64_u32 v[29:30], s[0:1], s4, v3, 0
	v_add_u32_e32 v3, 0xd00, v36
	v_add_u32_e32 v4, 0x1200, v36
	v_mov_b32_e32 v6, v7
	ds_read_b32 v43, v36 offset:6300
	ds_read_b32 v44, v37
	ds_read_b32 v45, v36 offset:2100
	ds_read_b32 v46, v36
	ds_read2_b32 v[36:37], v3 offset0:43 offset1:218
	ds_read2_b32 v[38:39], v4 offset0:73 offset1:248
	v_lshlrev_b64 v[3:4], 3, v[5:6]
	v_add3_u32 v30, v30, v42, v23
	v_add_co_u32_e32 v40, vcc, s12, v3
	v_addc_co_u32_e32 v41, vcc, v12, v4, vcc
	global_load_dwordx4 v[3:6], v[40:41], off offset:2800
	global_load_dwordx4 v[32:35], v[40:41], off offset:2784
	s_mov_b32 s4, 0x5d9f7391
	s_waitcnt vmcnt(3)
	v_mul_f32_e32 v7, v22, v16
	v_mul_f32_e32 v12, v8, v18
	s_waitcnt vmcnt(2)
	v_mul_f32_e32 v23, v24, v28
	v_mul_f32_e32 v40, v10, v26
	s_waitcnt lgkmcnt(1)
	v_mul_f32_e32 v42, v36, v18
	s_waitcnt lgkmcnt(0)
	v_mul_f32_e32 v26, v38, v26
	v_mul_f32_e32 v41, v45, v16
	v_fma_f32 v45, v45, v15, -v7
	v_fma_f32 v12, v36, v17, -v12
	;; [unrolled: 1-line block ×4, first 2 shown]
	v_fmac_f32_e32 v42, v8, v17
	v_fmac_f32_e32 v26, v10, v25
	v_sub_f32_e32 v7, v45, v12
	v_sub_f32_e32 v8, v36, v38
	v_add_f32_e32 v17, v42, v26
	v_mul_f32_e32 v28, v43, v28
	v_add_f32_e32 v49, v7, v8
	v_fma_f32 v7, -0.5, v17, v21
	v_fmac_f32_e32 v41, v22, v15
	v_fmac_f32_e32 v28, v24, v27
	v_sub_f32_e32 v27, v45, v36
	v_mov_b32_e32 v17, v7
	v_add_f32_e32 v10, v12, v38
	v_sub_f32_e32 v15, v41, v42
	v_sub_f32_e32 v16, v28, v26
	;; [unrolled: 1-line block ×3, first 2 shown]
	v_fmac_f32_e32 v17, 0x3f737871, v27
	v_fmac_f32_e32 v7, 0xbf737871, v27
	v_fma_f32 v8, -0.5, v10, v44
	v_add_f32_e32 v10, v15, v16
	v_fmac_f32_e32 v17, 0x3f167918, v40
	v_fmac_f32_e32 v7, 0xbf167918, v40
	v_sub_f32_e32 v18, v12, v45
	v_sub_f32_e32 v22, v38, v36
	v_add_f32_e32 v23, v45, v36
	v_fmac_f32_e32 v17, 0x3e9e377a, v10
	v_fmac_f32_e32 v7, 0x3e9e377a, v10
	v_add_f32_e32 v10, v45, v44
	v_sub_f32_e32 v24, v41, v28
	v_add_f32_e32 v50, v18, v22
	v_fma_f32 v16, -0.5, v23, v44
	v_mov_b32_e32 v18, v8
	v_add_f32_e32 v10, v12, v10
	v_sub_f32_e32 v25, v42, v26
	v_mov_b32_e32 v23, v16
	v_fmac_f32_e32 v18, 0xbf737871, v24
	v_fmac_f32_e32 v8, 0x3f737871, v24
	v_add_f32_e32 v10, v38, v10
	ds_read_b32 v12, v19
	v_add_f32_e32 v48, v41, v28
	v_fmac_f32_e32 v16, 0xbf737871, v25
	v_fmac_f32_e32 v23, 0x3f737871, v25
	;; [unrolled: 1-line block ×4, first 2 shown]
	v_add_f32_e32 v25, v36, v10
	v_add_f32_e32 v10, v21, v41
	ds_read_b32 v19, v20
	v_fma_f32 v15, -0.5, v48, v21
	v_add_f32_e32 v10, v10, v42
	v_mov_b32_e32 v22, v15
	v_add_f32_e32 v10, v10, v26
	v_fmac_f32_e32 v15, 0x3f737871, v40
	v_fmac_f32_e32 v22, 0xbf737871, v40
	;; [unrolled: 1-line block ×4, first 2 shown]
	v_add_f32_e32 v24, v28, v10
	s_waitcnt vmcnt(0)
	v_mul_f32_e32 v10, v14, v33
	v_sub_f32_e32 v47, v26, v28
	v_fmac_f32_e32 v15, 0xbf167918, v27
	v_fmac_f32_e32 v22, 0x3f167918, v27
	s_waitcnt lgkmcnt(1)
	v_fma_f32 v20, v12, v32, -v10
	v_mul_f32_e32 v10, v13, v35
	v_mul_f32_e32 v26, v11, v6
	;; [unrolled: 1-line block ×3, first 2 shown]
	s_waitcnt lgkmcnt(0)
	v_fma_f32 v21, v19, v34, -v10
	v_fma_f32 v26, v39, v5, -v26
	;; [unrolled: 1-line block ×3, first 2 shown]
	v_mul_f32_e32 v6, v39, v6
	v_mul_f32_e32 v19, v19, v35
	v_mul_f32_e32 v33, v12, v33
	v_fmac_f32_e32 v6, v11, v5
	v_fmac_f32_e32 v19, v13, v34
	v_mul_f32_e32 v34, v37, v4
	v_sub_f32_e32 v11, v21, v20
	v_sub_f32_e32 v12, v27, v26
	v_fmac_f32_e32 v33, v14, v32
	v_fmac_f32_e32 v34, v9, v3
	v_add_f32_e32 v38, v11, v12
	v_add_f32_e32 v11, v20, v26
	v_sub_f32_e32 v10, v20, v21
	v_sub_f32_e32 v28, v26, v27
	;; [unrolled: 1-line block ×5, first 2 shown]
	v_fma_f32 v12, -0.5, v11, v46
	v_sub_f32_e32 v11, v19, v33
	v_sub_f32_e32 v13, v34, v6
	v_add_f32_e32 v20, v20, v46
	v_add_f32_e32 v28, v10, v28
	;; [unrolled: 1-line block ×5, first 2 shown]
	v_sub_f32_e32 v37, v21, v27
	v_add_f32_e32 v39, v11, v13
	v_add_f32_e32 v11, v33, v6
	;; [unrolled: 1-line block ×3, first 2 shown]
	v_mul_hi_u32 v21, v31, s4
	v_fma_f32 v9, -0.5, v4, v0
	v_fma_f32 v11, -0.5, v11, v0
	v_add_f32_e32 v0, v0, v33
	v_add_f32_e32 v0, v0, v19
	;; [unrolled: 1-line block ×3, first 2 shown]
	v_sub_f32_e32 v3, v19, v34
	v_add_f32_e32 v19, v6, v0
	v_lshrrev_b32_e32 v0, 7, v21
	v_mul_u32_u24_e32 v0, 0x15e, v0
	v_sub_f32_e32 v32, v33, v6
	v_add_f32_e32 v20, v27, v20
	v_sub_u32_e32 v6, v31, v0
	v_add_f32_e32 v20, v26, v20
	v_mad_u64_u32 v[26:27], s[0:1], s2, v6, 0
	v_fma_f32 v10, -0.5, v10, v46
	v_mov_b32_e32 v5, v10
	v_fmac_f32_e32 v5, 0xbf737871, v32
	v_fmac_f32_e32 v10, 0x3f737871, v32
	;; [unrolled: 1-line block ×4, first 2 shown]
	v_mov_b32_e32 v0, v27
	v_fmac_f32_e32 v5, 0x3e9e377a, v28
	v_fmac_f32_e32 v10, 0x3e9e377a, v28
	v_mad_u64_u32 v[27:28], s[0:1], s3, v6, v[0:1]
	v_lshlrev_b64 v[28:29], 3, v[29:30]
	v_mov_b32_e32 v0, s11
	v_add_co_u32_e32 v21, vcc, s10, v28
	v_mov_b32_e32 v14, v12
	v_addc_co_u32_e32 v28, vcc, v0, v29, vcc
	v_add_u32_e32 v29, 0x15e, v6
	v_mov_b32_e32 v4, v9
	v_fmac_f32_e32 v14, 0xbf737871, v3
	v_fmac_f32_e32 v12, 0x3f737871, v3
	v_lshlrev_b64 v[0:1], 3, v[1:2]
	v_mad_u64_u32 v[2:3], s[0:1], s2, v29, 0
	v_fmac_f32_e32 v4, 0x3f737871, v36
	v_fmac_f32_e32 v4, 0x3f167918, v37
	;; [unrolled: 1-line block ×3, first 2 shown]
	v_add_co_u32_e32 v30, vcc, v21, v0
	v_addc_co_u32_e32 v28, vcc, v28, v1, vcc
	v_lshlrev_b64 v[0:1], 3, v[26:27]
	v_mad_u64_u32 v[26:27], s[0:1], s3, v29, v[3:4]
	v_add_co_u32_e32 v0, vcc, v30, v0
	v_addc_co_u32_e32 v1, vcc, v28, v1, vcc
	global_store_dwordx2 v[0:1], v[19:20], off
	v_mov_b32_e32 v3, v26
	v_add_u32_e32 v19, 0x2bc, v6
	v_lshlrev_b64 v[0:1], 3, v[2:3]
	v_mad_u64_u32 v[2:3], s[0:1], s2, v19, 0
	v_add_u32_e32 v26, 0x41a, v6
	v_fmac_f32_e32 v9, 0xbf737871, v36
	v_mad_u64_u32 v[19:20], s[0:1], s3, v19, v[3:4]
	v_mad_u64_u32 v[20:21], s[0:1], s2, v26, 0
	v_fmac_f32_e32 v9, 0xbf167918, v37
	v_add_co_u32_e32 v0, vcc, v30, v0
	v_fmac_f32_e32 v9, 0x3e9e377a, v35
	v_addc_co_u32_e32 v1, vcc, v28, v1, vcc
	v_mov_b32_e32 v3, v19
	v_mov_b32_e32 v13, v11
	global_store_dwordx2 v[0:1], v[9:10], off
	v_lshlrev_b64 v[0:1], 3, v[2:3]
	v_mov_b32_e32 v2, v21
	v_fmac_f32_e32 v13, 0x3f737871, v37
	v_mad_u64_u32 v[2:3], s[0:1], s3, v26, v[2:3]
	v_fmac_f32_e32 v14, 0x3f167918, v32
	v_fmac_f32_e32 v13, 0xbf167918, v36
	v_add_co_u32_e32 v0, vcc, v30, v0
	v_fmac_f32_e32 v14, 0x3e9e377a, v38
	v_fmac_f32_e32 v13, 0x3e9e377a, v39
	v_addc_co_u32_e32 v1, vcc, v28, v1, vcc
	global_store_dwordx2 v[0:1], v[13:14], off
	v_add_u32_e32 v6, 0x578, v6
	v_add_u32_e32 v13, 0xaf, v31
	v_mov_b32_e32 v21, v2
	v_mad_u64_u32 v[2:3], s[0:1], s2, v6, 0
	v_mul_hi_u32 v14, v13, s4
	v_lshlrev_b64 v[0:1], 3, v[20:21]
	v_mad_u64_u32 v[9:10], s[0:1], s3, v6, v[3:4]
	v_lshrrev_b32_e32 v3, 7, v14
	v_mul_u32_u24_e32 v6, 0x15e, v3
	v_sub_u32_e32 v6, v13, v6
	s_movk_i32 s0, 0x6d6
	v_mad_u32_u24 v6, v3, s0, v6
	v_mad_u64_u32 v[13:14], s[0:1], s2, v6, 0
	v_fmac_f32_e32 v11, 0xbf737871, v37
	v_fmac_f32_e32 v12, 0xbf167918, v32
	;; [unrolled: 1-line block ×3, first 2 shown]
	v_add_co_u32_e32 v0, vcc, v30, v0
	v_fmac_f32_e32 v12, 0x3e9e377a, v38
	v_fmac_f32_e32 v11, 0x3e9e377a, v39
	v_addc_co_u32_e32 v1, vcc, v28, v1, vcc
	v_mov_b32_e32 v3, v9
	global_store_dwordx2 v[0:1], v[11:12], off
	v_lshlrev_b64 v[0:1], 3, v[2:3]
	v_mov_b32_e32 v2, v14
	v_mad_u64_u32 v[2:3], s[0:1], s3, v6, v[2:3]
	v_add_co_u32_e32 v0, vcc, v30, v0
	v_addc_co_u32_e32 v1, vcc, v28, v1, vcc
	global_store_dwordx2 v[0:1], v[4:5], off
	v_add_u32_e32 v4, 0x15e, v6
	v_mov_b32_e32 v14, v2
	v_mad_u64_u32 v[2:3], s[0:1], s2, v4, 0
	v_add_u32_e32 v9, 0x2bc, v6
	v_lshlrev_b64 v[0:1], 3, v[13:14]
	v_mad_u64_u32 v[3:4], s[0:1], s3, v4, v[3:4]
	v_mad_u64_u32 v[4:5], s[0:1], s2, v9, 0
	v_add_co_u32_e32 v0, vcc, v30, v0
	v_addc_co_u32_e32 v1, vcc, v28, v1, vcc
	global_store_dwordx2 v[0:1], v[24:25], off
	v_lshlrev_b64 v[0:1], 3, v[2:3]
	v_mov_b32_e32 v2, v5
	v_mad_u64_u32 v[2:3], s[0:1], s3, v9, v[2:3]
	v_add_co_u32_e32 v0, vcc, v30, v0
	v_fmac_f32_e32 v8, 0x3e9e377a, v49
	v_addc_co_u32_e32 v1, vcc, v28, v1, vcc
	v_mov_b32_e32 v5, v2
	global_store_dwordx2 v[0:1], v[7:8], off
	v_lshlrev_b64 v[0:1], 3, v[4:5]
	v_add_u32_e32 v4, 0x41a, v6
	v_mad_u64_u32 v[2:3], s[0:1], s2, v4, 0
	v_add_u32_e32 v6, 0x578, v6
	v_sub_f32_e32 v43, v42, v41
	v_mad_u64_u32 v[3:4], s[0:1], s3, v4, v[3:4]
	v_mad_u64_u32 v[4:5], s[0:1], s2, v6, 0
	v_add_f32_e32 v43, v43, v47
	v_add_co_u32_e32 v0, vcc, v30, v0
	v_fmac_f32_e32 v16, 0x3e9e377a, v50
	v_fmac_f32_e32 v15, 0x3e9e377a, v43
	v_addc_co_u32_e32 v1, vcc, v28, v1, vcc
	global_store_dwordx2 v[0:1], v[15:16], off
	v_lshlrev_b64 v[0:1], 3, v[2:3]
	v_mov_b32_e32 v2, v5
	v_mad_u64_u32 v[2:3], s[0:1], s3, v6, v[2:3]
	v_add_co_u32_e32 v0, vcc, v30, v0
	v_fmac_f32_e32 v23, 0x3e9e377a, v50
	v_fmac_f32_e32 v22, 0x3e9e377a, v43
	v_addc_co_u32_e32 v1, vcc, v28, v1, vcc
	v_mov_b32_e32 v5, v2
	global_store_dwordx2 v[0:1], v[22:23], off
	v_lshlrev_b64 v[0:1], 3, v[4:5]
	v_fmac_f32_e32 v18, 0x3e9e377a, v49
	v_add_co_u32_e32 v0, vcc, v30, v0
	v_addc_co_u32_e32 v1, vcc, v28, v1, vcc
	global_store_dwordx2 v[0:1], v[17:18], off
.LBB0_23:
	s_endpgm
	.section	.rodata,"a",@progbits
	.p2align	6, 0x0
	.amdhsa_kernel fft_rtc_back_len1750_factors_2_5_5_7_5_wgs_175_tpt_175_halfLds_sp_op_CI_CI_sbrr_dirReg
		.amdhsa_group_segment_fixed_size 0
		.amdhsa_private_segment_fixed_size 0
		.amdhsa_kernarg_size 104
		.amdhsa_user_sgpr_count 6
		.amdhsa_user_sgpr_private_segment_buffer 1
		.amdhsa_user_sgpr_dispatch_ptr 0
		.amdhsa_user_sgpr_queue_ptr 0
		.amdhsa_user_sgpr_kernarg_segment_ptr 1
		.amdhsa_user_sgpr_dispatch_id 0
		.amdhsa_user_sgpr_flat_scratch_init 0
		.amdhsa_user_sgpr_private_segment_size 0
		.amdhsa_uses_dynamic_stack 0
		.amdhsa_system_sgpr_private_segment_wavefront_offset 0
		.amdhsa_system_sgpr_workgroup_id_x 1
		.amdhsa_system_sgpr_workgroup_id_y 0
		.amdhsa_system_sgpr_workgroup_id_z 0
		.amdhsa_system_sgpr_workgroup_info 0
		.amdhsa_system_vgpr_workitem_id 0
		.amdhsa_next_free_vgpr 61
		.amdhsa_next_free_sgpr 32
		.amdhsa_reserve_vcc 1
		.amdhsa_reserve_flat_scratch 0
		.amdhsa_float_round_mode_32 0
		.amdhsa_float_round_mode_16_64 0
		.amdhsa_float_denorm_mode_32 3
		.amdhsa_float_denorm_mode_16_64 3
		.amdhsa_dx10_clamp 1
		.amdhsa_ieee_mode 1
		.amdhsa_fp16_overflow 0
		.amdhsa_exception_fp_ieee_invalid_op 0
		.amdhsa_exception_fp_denorm_src 0
		.amdhsa_exception_fp_ieee_div_zero 0
		.amdhsa_exception_fp_ieee_overflow 0
		.amdhsa_exception_fp_ieee_underflow 0
		.amdhsa_exception_fp_ieee_inexact 0
		.amdhsa_exception_int_div_zero 0
	.end_amdhsa_kernel
	.text
.Lfunc_end0:
	.size	fft_rtc_back_len1750_factors_2_5_5_7_5_wgs_175_tpt_175_halfLds_sp_op_CI_CI_sbrr_dirReg, .Lfunc_end0-fft_rtc_back_len1750_factors_2_5_5_7_5_wgs_175_tpt_175_halfLds_sp_op_CI_CI_sbrr_dirReg
                                        ; -- End function
	.section	.AMDGPU.csdata,"",@progbits
; Kernel info:
; codeLenInByte = 8500
; NumSgprs: 36
; NumVgprs: 61
; ScratchSize: 0
; MemoryBound: 0
; FloatMode: 240
; IeeeMode: 1
; LDSByteSize: 0 bytes/workgroup (compile time only)
; SGPRBlocks: 4
; VGPRBlocks: 15
; NumSGPRsForWavesPerEU: 36
; NumVGPRsForWavesPerEU: 61
; Occupancy: 4
; WaveLimiterHint : 1
; COMPUTE_PGM_RSRC2:SCRATCH_EN: 0
; COMPUTE_PGM_RSRC2:USER_SGPR: 6
; COMPUTE_PGM_RSRC2:TRAP_HANDLER: 0
; COMPUTE_PGM_RSRC2:TGID_X_EN: 1
; COMPUTE_PGM_RSRC2:TGID_Y_EN: 0
; COMPUTE_PGM_RSRC2:TGID_Z_EN: 0
; COMPUTE_PGM_RSRC2:TIDIG_COMP_CNT: 0
	.type	__hip_cuid_50b21e3fce35fa88,@object ; @__hip_cuid_50b21e3fce35fa88
	.section	.bss,"aw",@nobits
	.globl	__hip_cuid_50b21e3fce35fa88
__hip_cuid_50b21e3fce35fa88:
	.byte	0                               ; 0x0
	.size	__hip_cuid_50b21e3fce35fa88, 1

	.ident	"AMD clang version 19.0.0git (https://github.com/RadeonOpenCompute/llvm-project roc-6.4.0 25133 c7fe45cf4b819c5991fe208aaa96edf142730f1d)"
	.section	".note.GNU-stack","",@progbits
	.addrsig
	.addrsig_sym __hip_cuid_50b21e3fce35fa88
	.amdgpu_metadata
---
amdhsa.kernels:
  - .args:
      - .actual_access:  read_only
        .address_space:  global
        .offset:         0
        .size:           8
        .value_kind:     global_buffer
      - .offset:         8
        .size:           8
        .value_kind:     by_value
      - .actual_access:  read_only
        .address_space:  global
        .offset:         16
        .size:           8
        .value_kind:     global_buffer
      - .actual_access:  read_only
        .address_space:  global
        .offset:         24
        .size:           8
        .value_kind:     global_buffer
      - .actual_access:  read_only
        .address_space:  global
        .offset:         32
        .size:           8
        .value_kind:     global_buffer
      - .offset:         40
        .size:           8
        .value_kind:     by_value
      - .actual_access:  read_only
        .address_space:  global
        .offset:         48
        .size:           8
        .value_kind:     global_buffer
      - .actual_access:  read_only
        .address_space:  global
        .offset:         56
        .size:           8
        .value_kind:     global_buffer
      - .offset:         64
        .size:           4
        .value_kind:     by_value
      - .actual_access:  read_only
        .address_space:  global
        .offset:         72
        .size:           8
        .value_kind:     global_buffer
      - .actual_access:  read_only
        .address_space:  global
        .offset:         80
        .size:           8
        .value_kind:     global_buffer
      - .actual_access:  read_only
        .address_space:  global
        .offset:         88
        .size:           8
        .value_kind:     global_buffer
      - .actual_access:  write_only
        .address_space:  global
        .offset:         96
        .size:           8
        .value_kind:     global_buffer
    .group_segment_fixed_size: 0
    .kernarg_segment_align: 8
    .kernarg_segment_size: 104
    .language:       OpenCL C
    .language_version:
      - 2
      - 0
    .max_flat_workgroup_size: 175
    .name:           fft_rtc_back_len1750_factors_2_5_5_7_5_wgs_175_tpt_175_halfLds_sp_op_CI_CI_sbrr_dirReg
    .private_segment_fixed_size: 0
    .sgpr_count:     36
    .sgpr_spill_count: 0
    .symbol:         fft_rtc_back_len1750_factors_2_5_5_7_5_wgs_175_tpt_175_halfLds_sp_op_CI_CI_sbrr_dirReg.kd
    .uniform_work_group_size: 1
    .uses_dynamic_stack: false
    .vgpr_count:     61
    .vgpr_spill_count: 0
    .wavefront_size: 64
amdhsa.target:   amdgcn-amd-amdhsa--gfx906
amdhsa.version:
  - 1
  - 2
...

	.end_amdgpu_metadata
